;; amdgpu-corpus repo=zjin-lcf/HeCBench kind=compiled arch=gfx906 opt=O3
	.amdgcn_target "amdgcn-amd-amdhsa--gfx906"
	.amdhsa_code_object_version 6
	.text
	.protected	_Z14kernelGuidancePK15HIP_vector_typeIhLj3EEPS0_6Params ; -- Begin function _Z14kernelGuidancePK15HIP_vector_typeIhLj3EEPS0_6Params
	.globl	_Z14kernelGuidancePK15HIP_vector_typeIhLj3EEPS0_6Params
	.p2align	8
	.type	_Z14kernelGuidancePK15HIP_vector_typeIhLj3EEPS0_6Params,@function
_Z14kernelGuidancePK15HIP_vector_typeIhLj3EEPS0_6Params: ; @_Z14kernelGuidancePK15HIP_vector_typeIhLj3EEPS0_6Params
; %bb.0:
	s_load_dword s14, s[4:5], 0x10
	v_lshrrev_b32_e32 v1, 5, v0
	s_add_u32 s0, s4, 16
	v_lshl_add_u32 v6, s6, 2, v1
	s_addc_u32 s1, s5, 0
	s_waitcnt lgkmcnt(0)
	v_cmp_gt_u32_e32 vcc, s14, v6
	s_and_saveexec_b64 s[2:3], vcc
	s_cbranch_execz .LBB0_8
; %bb.1:
	s_load_dword s2, s[4:5], 0x14
	s_waitcnt lgkmcnt(0)
	s_cmp_ge_u32 s7, s2
	s_cbranch_scc1 .LBB0_8
; %bb.2:
	s_load_dwordx4 s[8:11], s[0:1], 0x8
	v_cvt_f32_u32_e32 v1, v6
	v_add_u32_e32 v2, 1, v6
	v_cvt_f32_u32_e32 v2, v2
	s_add_i32 s0, s7, 1
	s_waitcnt lgkmcnt(0)
	v_cvt_f32_u32_e32 v4, s8
	v_mul_f32_e32 v1, s10, v1
	v_cvt_f32_u32_e32 v3, s7
	v_mul_f32_e32 v2, s10, v2
	v_max_f32_e32 v8, 0, v1
	v_cvt_f32_u32_e32 v1, s0
	v_min_f32_e32 v9, v2, v4
	v_cvt_f32_u32_e32 v2, s9
	v_mul_f32_e32 v3, s11, v3
	v_mul_f32_e32 v1, s11, v1
	v_max_f32_e32 v10, 0, v3
	v_min_f32_e32 v11, v1, v2
	v_floor_f32_e32 v1, v8
	v_cvt_u32_f32_e32 v12, v1
	v_floor_f32_e32 v1, v10
	v_cvt_u32_f32_e32 v13, v1
	v_ceil_f32_e32 v1, v9
	v_cvt_u32_f32_e32 v2, v1
	v_ceil_f32_e32 v1, v11
	v_cvt_u32_f32_e32 v1, v1
	s_load_dwordx2 s[10:11], s[4:5], 0x8
	v_sub_u32_e32 v14, v2, v12
	v_and_b32_e32 v7, 31, v0
	v_sub_u32_e32 v1, v1, v13
	v_mul_lo_u32 v15, v1, v14
	v_mov_b32_e32 v1, 0
	v_mov_b32_e32 v16, 0
	;; [unrolled: 1-line block ×3, first 2 shown]
	v_cmp_lt_u32_e32 vcc, v7, v15
	v_mov_b32_e32 v18, 0
	s_and_saveexec_b64 s[2:3], vcc
	s_cbranch_execz .LBB0_6
; %bb.3:
	v_cvt_f32_u32_e32 v1, v14
	v_sub_u32_e32 v19, 0, v14
	s_load_dwordx2 s[4:5], s[4:5], 0x0
	v_and_b32_e32 v5, 31, v0
	v_rcp_iflag_f32_e32 v1, v1
	v_sub_u32_e32 v20, v12, v2
	s_mov_b64 s[12:13], 0
	v_mul_f32_e32 v1, 0x4f7ffffe, v1
	v_cvt_u32_f32_e32 v3, v1
	v_mov_b32_e32 v1, 0
	v_mov_b32_e32 v16, v1
	;; [unrolled: 1-line block ×3, first 2 shown]
	v_mul_lo_u32 v4, v19, v3
	v_mov_b32_e32 v18, v1
	v_mul_hi_u32 v4, v3, v4
	v_add_u32_e32 v0, v3, v4
	v_mad_u64_u32 v[2:3], s[0:1], v0, v5, 0
	v_lshlrev_b64 v[4:5], 5, v[0:1]
	v_mov_b32_e32 v0, v7
.LBB0_4:                                ; =>This Inner Loop Header: Depth=1
	v_mad_u64_u32 v[21:22], s[0:1], v19, v3, v[0:1]
	v_add_u32_e32 v22, v21, v20
	v_cmp_ge_u32_e32 vcc, v21, v14
	v_cndmask_b32_e32 v21, v21, v22, vcc
	v_add_u32_e32 v22, 1, v3
	v_cndmask_b32_e32 v22, v3, v22, vcc
	v_add_u32_e32 v23, 1, v22
	v_cmp_ge_u32_e32 vcc, v21, v14
	v_cndmask_b32_e32 v21, v22, v23, vcc
	v_mul_lo_u32 v22, v19, v21
	v_add_u32_e32 v24, v21, v13
	v_add3_u32 v21, v12, v0, v22
	v_mad_u64_u32 v[22:23], s[0:1], v24, s8, v[21:22]
	v_cvt_f32_u32_e32 v21, v21
	v_add_u32_e32 v0, 32, v0
	s_waitcnt lgkmcnt(0)
	v_mad_u64_u32 v[22:23], s[0:1], v22, 3, s[4:5]
	global_load_ushort v25, v[22:23], off
	global_load_ubyte v26, v[22:23], off offset:2
	v_sub_f32_e32 v22, v21, v8
	v_cmp_gt_f32_e32 vcc, v8, v21
	v_add_f32_e32 v21, 1.0, v21
	v_sub_f32_e32 v23, v9, v21
	v_add_f32_e32 v22, 1.0, v22
	v_add_f32_e32 v23, 1.0, v23
	v_cmp_gt_f32_e64 s[0:1], v21, v9
	v_cndmask_b32_e32 v21, 1.0, v22, vcc
	v_cndmask_b32_e64 v22, 1.0, v23, s[0:1]
	v_mul_f32_e32 v21, v21, v22
	v_cvt_f32_u32_e32 v22, v24
	v_sub_f32_e32 v23, v22, v10
	v_add_f32_e32 v23, 1.0, v23
	v_mul_f32_e32 v23, v23, v21
	v_cmp_gt_f32_e32 vcc, v10, v22
	v_add_f32_e32 v22, 1.0, v22
	v_cndmask_b32_e32 v21, v21, v23, vcc
	v_sub_f32_e32 v23, v11, v22
	v_add_f32_e32 v23, 1.0, v23
	v_mul_f32_e32 v23, v23, v21
	v_cmp_gt_f32_e32 vcc, v22, v11
	v_cndmask_b32_e32 v21, v21, v23, vcc
	v_add_co_u32_e32 v2, vcc, v2, v4
	v_addc_co_u32_e32 v3, vcc, v3, v5, vcc
	v_cmp_ge_u32_e32 vcc, v0, v15
	s_or_b64 s[12:13], vcc, s[12:13]
	v_add_f32_e32 v18, v18, v21
	s_waitcnt vmcnt(1)
	v_cvt_f32_ubyte0_e32 v22, v25
	v_fmac_f32_e32 v1, v21, v22
	v_cvt_f32_ubyte1_e32 v22, v25
	s_waitcnt vmcnt(0)
	v_cvt_f32_ubyte0_e32 v23, v26
	v_fmac_f32_e32 v16, v21, v22
	v_fmac_f32_e32 v17, v21, v23
	s_andn2_b64 exec, exec, s[12:13]
	s_cbranch_execnz .LBB0_4
; %bb.5:
	s_or_b64 exec, exec, s[12:13]
.LBB0_6:
	s_or_b64 exec, exec, s[2:3]
	v_mbcnt_lo_u32_b32 v0, -1, 0
	v_mbcnt_hi_u32_b32 v5, -1, v0
	v_lshl_or_b32 v0, v5, 2, 64
	ds_bpermute_b32 v2, v0, v1
	ds_bpermute_b32 v3, v0, v16
	;; [unrolled: 1-line block ×4, first 2 shown]
	v_and_b32_e32 v8, 31, v5
	v_cmp_lt_u32_e32 vcc, 23, v8
	s_waitcnt lgkmcnt(0)
	v_add_f32_e32 v1, v1, v2
	v_add_f32_e32 v2, v16, v3
	;; [unrolled: 1-line block ×3, first 2 shown]
	v_cndmask_b32_e64 v4, 8, 0, vcc
	v_add_f32_e32 v0, v18, v0
	v_add_lshl_u32 v4, v4, v5, 2
	ds_bpermute_b32 v9, v4, v1
	ds_bpermute_b32 v10, v4, v2
	ds_bpermute_b32 v11, v4, v3
	ds_bpermute_b32 v4, v4, v0
	v_cmp_lt_u32_e32 vcc, 27, v8
	s_waitcnt lgkmcnt(3)
	v_add_f32_e32 v1, v1, v9
	s_waitcnt lgkmcnt(2)
	v_add_f32_e32 v2, v2, v10
	;; [unrolled: 2-line block ×4, first 2 shown]
	v_cndmask_b32_e64 v4, 4, 0, vcc
	v_add_lshl_u32 v4, v4, v5, 2
	ds_bpermute_b32 v9, v4, v1
	ds_bpermute_b32 v10, v4, v2
	;; [unrolled: 1-line block ×4, first 2 shown]
	v_cmp_lt_u32_e32 vcc, 29, v8
	s_waitcnt lgkmcnt(3)
	v_add_f32_e32 v1, v1, v9
	s_waitcnt lgkmcnt(2)
	v_add_f32_e32 v9, v2, v10
	;; [unrolled: 2-line block ×4, first 2 shown]
	v_cndmask_b32_e64 v0, 2, 0, vcc
	v_add_lshl_u32 v0, v0, v5, 2
	ds_bpermute_b32 v2, v0, v1
	ds_bpermute_b32 v3, v0, v9
	;; [unrolled: 1-line block ×4, first 2 shown]
	v_cmp_ne_u32_e32 vcc, 31, v8
	s_waitcnt lgkmcnt(3)
	v_add_f32_e32 v2, v1, v2
	v_addc_co_u32_e32 v1, vcc, 0, v5, vcc
	s_waitcnt lgkmcnt(2)
	v_add_f32_e32 v3, v9, v3
	s_waitcnt lgkmcnt(1)
	v_add_f32_e32 v0, v10, v11
	;; [unrolled: 2-line block ×3, first 2 shown]
	v_lshlrev_b32_e32 v9, 2, v1
	ds_bpermute_b32 v5, v9, v2
	ds_bpermute_b32 v8, v9, v3
	;; [unrolled: 1-line block ×4, first 2 shown]
	v_cmp_eq_u32_e32 vcc, 0, v7
	s_and_b64 exec, exec, vcc
	s_cbranch_execz .LBB0_8
; %bb.7:
	s_waitcnt lgkmcnt(0)
	v_add_f32_e32 v4, v4, v9
	v_add_f32_e32 v2, v2, v5
	v_div_scale_f32 v5, s[0:1], v4, v4, v2
	v_add_f32_e32 v3, v3, v8
	v_div_scale_f32 v7, s[0:1], v4, v4, v3
	v_div_scale_f32 v8, vcc, v2, v4, v2
	v_add_f32_e32 v0, v0, v1
	v_div_scale_f32 v1, s[0:1], v3, v4, v3
	v_div_scale_f32 v9, s[2:3], v4, v4, v0
	;; [unrolled: 1-line block ×3, first 2 shown]
	s_mul_i32 s14, s14, s7
	v_rcp_f32_e32 v10, v5
	v_rcp_f32_e32 v11, v7
	v_fma_f32 v13, -v5, v10, 1.0
	v_fmac_f32_e32 v10, v13, v10
	v_mul_f32_e32 v13, v8, v10
	v_fma_f32 v14, -v7, v11, 1.0
	v_fmac_f32_e32 v11, v14, v11
	v_fma_f32 v14, -v5, v13, v8
	v_fmac_f32_e32 v13, v14, v10
	v_fma_f32 v5, -v5, v13, v8
	v_mul_f32_e32 v8, v1, v11
	v_div_fmas_f32 v5, v5, v10, v13
	v_fma_f32 v10, -v7, v8, v1
	v_fmac_f32_e32 v8, v10, v11
	v_rcp_f32_e32 v10, v9
	v_fma_f32 v1, -v7, v8, v1
	s_mov_b64 vcc, s[0:1]
	v_div_fmas_f32 v1, v1, v11, v8
	v_fma_f32 v7, -v9, v10, 1.0
	v_fmac_f32_e32 v10, v7, v10
	v_mul_f32_e32 v7, v12, v10
	v_fma_f32 v8, -v9, v7, v12
	v_fmac_f32_e32 v7, v8, v10
	v_fma_f32 v8, -v9, v7, v12
	s_mov_b64 vcc, s[2:3]
	v_div_fmas_f32 v7, v8, v10, v7
	v_div_fixup_f32 v2, v5, v4, v2
	v_cvt_i32_f32_e32 v2, v2
	v_div_fixup_f32 v1, v1, v4, v3
	v_cvt_i32_f32_e32 v3, v1
	v_lshl_or_b32 v2, v3, 8, v2
	v_div_fixup_f32 v0, v7, v4, v0
	v_cvt_i32_f32_e32 v4, v0
	v_add_u32_e32 v0, s14, v6
	v_mad_u64_u32 v[0:1], s[0:1], v0, 3, s[10:11]
	global_store_byte v[0:1], v4, off offset:2
	global_store_short v[0:1], v2, off
.LBB0_8:
	s_endpgm
	.section	.rodata,"a",@progbits
	.p2align	6, 0x0
	.amdhsa_kernel _Z14kernelGuidancePK15HIP_vector_typeIhLj3EEPS0_6Params
		.amdhsa_group_segment_fixed_size 0
		.amdhsa_private_segment_fixed_size 0
		.amdhsa_kernarg_size 48
		.amdhsa_user_sgpr_count 6
		.amdhsa_user_sgpr_private_segment_buffer 1
		.amdhsa_user_sgpr_dispatch_ptr 0
		.amdhsa_user_sgpr_queue_ptr 0
		.amdhsa_user_sgpr_kernarg_segment_ptr 1
		.amdhsa_user_sgpr_dispatch_id 0
		.amdhsa_user_sgpr_flat_scratch_init 0
		.amdhsa_user_sgpr_private_segment_size 0
		.amdhsa_uses_dynamic_stack 0
		.amdhsa_system_sgpr_private_segment_wavefront_offset 0
		.amdhsa_system_sgpr_workgroup_id_x 1
		.amdhsa_system_sgpr_workgroup_id_y 1
		.amdhsa_system_sgpr_workgroup_id_z 0
		.amdhsa_system_sgpr_workgroup_info 0
		.amdhsa_system_vgpr_workitem_id 0
		.amdhsa_next_free_vgpr 27
		.amdhsa_next_free_sgpr 15
		.amdhsa_reserve_vcc 1
		.amdhsa_reserve_flat_scratch 0
		.amdhsa_float_round_mode_32 0
		.amdhsa_float_round_mode_16_64 0
		.amdhsa_float_denorm_mode_32 3
		.amdhsa_float_denorm_mode_16_64 3
		.amdhsa_dx10_clamp 1
		.amdhsa_ieee_mode 1
		.amdhsa_fp16_overflow 0
		.amdhsa_exception_fp_ieee_invalid_op 0
		.amdhsa_exception_fp_denorm_src 0
		.amdhsa_exception_fp_ieee_div_zero 0
		.amdhsa_exception_fp_ieee_overflow 0
		.amdhsa_exception_fp_ieee_underflow 0
		.amdhsa_exception_fp_ieee_inexact 0
		.amdhsa_exception_int_div_zero 0
	.end_amdhsa_kernel
	.text
.Lfunc_end0:
	.size	_Z14kernelGuidancePK15HIP_vector_typeIhLj3EEPS0_6Params, .Lfunc_end0-_Z14kernelGuidancePK15HIP_vector_typeIhLj3EEPS0_6Params
                                        ; -- End function
	.set _Z14kernelGuidancePK15HIP_vector_typeIhLj3EEPS0_6Params.num_vgpr, 27
	.set _Z14kernelGuidancePK15HIP_vector_typeIhLj3EEPS0_6Params.num_agpr, 0
	.set _Z14kernelGuidancePK15HIP_vector_typeIhLj3EEPS0_6Params.numbered_sgpr, 15
	.set _Z14kernelGuidancePK15HIP_vector_typeIhLj3EEPS0_6Params.num_named_barrier, 0
	.set _Z14kernelGuidancePK15HIP_vector_typeIhLj3EEPS0_6Params.private_seg_size, 0
	.set _Z14kernelGuidancePK15HIP_vector_typeIhLj3EEPS0_6Params.uses_vcc, 1
	.set _Z14kernelGuidancePK15HIP_vector_typeIhLj3EEPS0_6Params.uses_flat_scratch, 0
	.set _Z14kernelGuidancePK15HIP_vector_typeIhLj3EEPS0_6Params.has_dyn_sized_stack, 0
	.set _Z14kernelGuidancePK15HIP_vector_typeIhLj3EEPS0_6Params.has_recursion, 0
	.set _Z14kernelGuidancePK15HIP_vector_typeIhLj3EEPS0_6Params.has_indirect_call, 0
	.section	.AMDGPU.csdata,"",@progbits
; Kernel info:
; codeLenInByte = 1284
; TotalNumSgprs: 19
; NumVgprs: 27
; ScratchSize: 0
; MemoryBound: 0
; FloatMode: 240
; IeeeMode: 1
; LDSByteSize: 0 bytes/workgroup (compile time only)
; SGPRBlocks: 2
; VGPRBlocks: 6
; NumSGPRsForWavesPerEU: 19
; NumVGPRsForWavesPerEU: 27
; Occupancy: 9
; WaveLimiterHint : 0
; COMPUTE_PGM_RSRC2:SCRATCH_EN: 0
; COMPUTE_PGM_RSRC2:USER_SGPR: 6
; COMPUTE_PGM_RSRC2:TRAP_HANDLER: 0
; COMPUTE_PGM_RSRC2:TGID_X_EN: 1
; COMPUTE_PGM_RSRC2:TGID_Y_EN: 1
; COMPUTE_PGM_RSRC2:TGID_Z_EN: 0
; COMPUTE_PGM_RSRC2:TIDIG_COMP_CNT: 0
	.text
	.protected	_Z18kernelDownsamplingPK15HIP_vector_typeIhLj3EES2_6ParamsPS0_ ; -- Begin function _Z18kernelDownsamplingPK15HIP_vector_typeIhLj3EES2_6ParamsPS0_
	.globl	_Z18kernelDownsamplingPK15HIP_vector_typeIhLj3EES2_6ParamsPS0_
	.p2align	8
	.type	_Z18kernelDownsamplingPK15HIP_vector_typeIhLj3EES2_6ParamsPS0_,@function
_Z18kernelDownsamplingPK15HIP_vector_typeIhLj3EES2_6ParamsPS0_: ; @_Z18kernelDownsamplingPK15HIP_vector_typeIhLj3EES2_6ParamsPS0_
; %bb.0:
	s_load_dwordx4 s[8:11], s[4:5], 0x10
	s_lshl_b32 s2, s6, 2
	v_lshrrev_b32_e32 v2, 5, v0
	v_add_u32_e32 v7, s2, v2
	s_waitcnt lgkmcnt(0)
	v_cmp_gt_u32_e32 vcc, s8, v7
	s_and_saveexec_b64 s[0:1], vcc
	s_cbranch_execz .LBB1_38
; %bb.1:
	s_load_dwordx4 s[12:15], s[4:5], 0x20
	s_cmp_ge_u32 s7, s9
	s_cbranch_scc1 .LBB1_38
; %bb.2:
	s_load_dwordx4 s[16:19], s[4:5], 0x0
	s_load_dwordx2 s[20:21], s[4:5], 0x30
	v_sub_u32_e32 v6, 0, v2
	v_add_u32_e32 v1, 1, v7
	s_cmp_eq_u32 s7, 0
	v_cmp_ne_u32_e32 vcc, s2, v6
	s_cbranch_scc1 .LBB1_10
; %bb.3:
                                        ; implicit-def: $vgpr3
                                        ; implicit-def: $vgpr2
                                        ; implicit-def: $sgpr3
	s_and_saveexec_b64 s[0:1], vcc
	s_xor_b64 s[0:1], exec, s[0:1]
                                        ; implicit-def: $vgpr5
	s_cbranch_execz .LBB1_5
; %bb.4:
	s_add_i32 s3, s7, -1
	s_mul_i32 s3, s8, s3
	v_add3_u32 v2, v7, s3, -1
	s_waitcnt lgkmcnt(0)
	v_mad_u64_u32 v[2:3], s[4:5], v2, 3, s[18:19]
	global_load_ushort v4, v[2:3], off
	global_load_ubyte v8, v[2:3], off offset:2
	s_waitcnt vmcnt(1)
	v_cvt_f32_ubyte0_e32 v5, v4
	v_cvt_f32_ubyte1_e32 v3, v4
	s_waitcnt vmcnt(0)
	v_cvt_f32_ubyte0_e32 v2, v8
.LBB1_5:
	s_or_saveexec_b64 s[0:1], s[0:1]
	v_mov_b32_e32 v4, 0x40400000
	v_mov_b32_e32 v8, s3
	s_xor_b64 exec, exec, s[0:1]
; %bb.6:
	s_add_i32 s3, s7, -1
	s_mul_i32 s3, s8, s3
	v_mov_b32_e32 v2, 0
	v_mov_b32_e32 v4, 2.0
	v_mov_b32_e32 v8, s3
	v_mov_b32_e32 v5, 0
	;; [unrolled: 1-line block ×3, first 2 shown]
; %bb.7:
	s_or_b64 exec, exec, s[0:1]
	v_add_u32_e32 v9, v8, v7
	s_waitcnt lgkmcnt(0)
	v_mad_u64_u32 v[9:10], s[0:1], v9, 3, s[18:19]
	v_cmp_gt_u32_e32 vcc, s8, v1
	global_load_ushort v11, v[9:10], off
	global_load_ubyte v12, v[9:10], off offset:2
	s_waitcnt vmcnt(1)
	v_cvt_f32_ubyte0_e32 v9, v11
	v_cvt_f32_ubyte1_e32 v10, v11
	s_waitcnt vmcnt(0)
	v_cvt_f32_ubyte0_e32 v11, v12
	v_fmac_f32_e32 v3, 2.0, v10
	v_fmac_f32_e32 v5, 2.0, v9
	;; [unrolled: 1-line block ×3, first 2 shown]
	s_and_saveexec_b64 s[0:1], vcc
	s_cbranch_execz .LBB1_9
; %bb.8:
	v_add_u32_e32 v8, v8, v1
	v_mad_u64_u32 v[8:9], s[4:5], v8, 3, s[18:19]
	v_add_f32_e32 v4, 1.0, v4
	global_load_ushort v10, v[8:9], off
	global_load_ubyte v11, v[8:9], off offset:2
	s_waitcnt vmcnt(1)
	v_cvt_f32_ubyte0_e32 v8, v10
	v_cvt_f32_ubyte1_e32 v9, v10
	s_waitcnt vmcnt(0)
	v_cvt_f32_ubyte0_e32 v10, v11
	v_add_f32_e32 v3, v3, v9
	v_add_f32_e32 v5, v5, v8
	;; [unrolled: 1-line block ×3, first 2 shown]
.LBB1_9:
	s_or_b64 exec, exec, s[0:1]
	s_branch .LBB1_11
.LBB1_10:
	v_mov_b32_e32 v5, 0
	v_mov_b32_e32 v3, v5
	;; [unrolled: 1-line block ×4, first 2 shown]
.LBB1_11:
	v_cmp_ne_u32_e32 vcc, s2, v6
	s_waitcnt lgkmcnt(0)
	s_mul_i32 s15, s8, s7
	s_and_saveexec_b64 s[0:1], vcc
	s_xor_b64 s[0:1], exec, s[0:1]
	s_cbranch_execz .LBB1_13
; %bb.12:
	v_add3_u32 v6, v7, s15, -1
	v_mad_u64_u32 v[8:9], s[2:3], v6, 3, s[18:19]
	v_add_f32_e32 v4, 2.0, v4
	global_load_ushort v6, v[8:9], off
	global_load_ubyte v10, v[8:9], off offset:2
	s_waitcnt vmcnt(1)
	v_cvt_f32_ubyte0_e32 v8, v6
	v_cvt_f32_ubyte1_e32 v6, v6
	s_waitcnt vmcnt(0)
	v_cvt_f32_ubyte0_e32 v9, v10
	v_fma_f32 v3, 2.0, v6, v3
	v_fmac_f32_e32 v5, 2.0, v8
	v_fmac_f32_e32 v2, 2.0, v9
.LBB1_13:
	s_or_saveexec_b64 s[0:1], s[0:1]
	v_mov_b32_e32 v6, s15
	s_xor_b64 exec, exec, s[0:1]
; %bb.14:
	v_mov_b32_e32 v6, s15
; %bb.15:
	s_or_b64 exec, exec, s[0:1]
	v_add_u32_e32 v8, v6, v7
	v_mad_u64_u32 v[8:9], s[0:1], v8, 3, s[18:19]
	v_add_f32_e32 v4, 4.0, v4
	v_cmp_gt_u32_e64 s[0:1], s8, v1
	global_load_ushort v10, v[8:9], off
	global_load_ubyte v11, v[8:9], off offset:2
	s_waitcnt vmcnt(1)
	v_cvt_f32_ubyte0_e32 v8, v10
	v_cvt_f32_ubyte1_e32 v9, v10
	s_waitcnt vmcnt(0)
	v_cvt_f32_ubyte0_e32 v10, v11
	v_fma_f32 v5, 4.0, v8, v5
	v_fmac_f32_e32 v3, 4.0, v9
	v_fmac_f32_e32 v2, 4.0, v10
	s_and_saveexec_b64 s[2:3], s[0:1]
	s_cbranch_execz .LBB1_17
; %bb.16:
	v_add_u32_e32 v6, v6, v1
	v_mad_u64_u32 v[8:9], s[4:5], v6, 3, s[18:19]
	v_add_f32_e32 v4, 2.0, v4
	global_load_ushort v6, v[8:9], off
	global_load_ubyte v10, v[8:9], off offset:2
	s_waitcnt vmcnt(1)
	v_cvt_f32_ubyte0_e32 v8, v6
	v_cvt_f32_ubyte1_e32 v6, v6
	s_waitcnt vmcnt(0)
	v_cvt_f32_ubyte0_e32 v9, v10
	v_fmac_f32_e32 v5, 2.0, v8
	v_fmac_f32_e32 v3, 2.0, v6
	;; [unrolled: 1-line block ×3, first 2 shown]
.LBB1_17:
	s_or_b64 exec, exec, s[2:3]
	s_add_i32 s4, s7, 1
	s_cmp_ge_u32 s4, s9
	s_cbranch_scc1 .LBB1_25
; %bb.18:
	s_mul_i32 s5, s8, s4
	s_and_saveexec_b64 s[2:3], vcc
	s_xor_b64 s[2:3], exec, s[2:3]
	s_cbranch_execz .LBB1_20
; %bb.19:
	v_add3_u32 v6, v7, s5, -1
	v_mad_u64_u32 v[8:9], s[8:9], v6, 3, s[18:19]
	v_add_f32_e32 v4, 1.0, v4
	global_load_ushort v6, v[8:9], off
	global_load_ubyte v10, v[8:9], off offset:2
	s_waitcnt vmcnt(1)
	v_cvt_f32_ubyte0_e32 v8, v6
	v_cvt_f32_ubyte1_e32 v6, v6
	s_waitcnt vmcnt(0)
	v_cvt_f32_ubyte0_e32 v9, v10
	v_add_f32_e32 v5, v5, v8
	v_add_f32_e32 v3, v3, v6
	;; [unrolled: 1-line block ×3, first 2 shown]
.LBB1_20:
	s_or_saveexec_b64 s[2:3], s[2:3]
	v_mov_b32_e32 v6, s5
	s_xor_b64 exec, exec, s[2:3]
; %bb.21:
	v_mov_b32_e32 v6, s5
; %bb.22:
	s_or_b64 exec, exec, s[2:3]
	v_add_u32_e32 v8, v6, v7
	v_mad_u64_u32 v[8:9], s[2:3], v8, 3, s[18:19]
	v_add_f32_e32 v4, 2.0, v4
	global_load_ushort v10, v[8:9], off
	global_load_ubyte v11, v[8:9], off offset:2
	s_waitcnt vmcnt(1)
	v_cvt_f32_ubyte0_e32 v8, v10
	v_cvt_f32_ubyte1_e32 v9, v10
	s_waitcnt vmcnt(0)
	v_cvt_f32_ubyte0_e32 v10, v11
	v_fmac_f32_e32 v5, 2.0, v8
	v_fmac_f32_e32 v3, 2.0, v9
	;; [unrolled: 1-line block ×3, first 2 shown]
	s_and_saveexec_b64 s[2:3], s[0:1]
	s_cbranch_execz .LBB1_24
; %bb.23:
	v_add_u32_e32 v6, v6, v1
	v_mad_u64_u32 v[8:9], s[0:1], v6, 3, s[18:19]
	v_add_f32_e32 v4, 1.0, v4
	global_load_ushort v6, v[8:9], off
	global_load_ubyte v10, v[8:9], off offset:2
	s_waitcnt vmcnt(1)
	v_cvt_f32_ubyte0_e32 v8, v6
	v_cvt_f32_ubyte1_e32 v6, v6
	s_waitcnt vmcnt(0)
	v_cvt_f32_ubyte0_e32 v9, v10
	v_add_f32_e32 v5, v5, v8
	v_add_f32_e32 v3, v3, v6
	;; [unrolled: 1-line block ×3, first 2 shown]
.LBB1_24:
	s_or_b64 exec, exec, s[2:3]
.LBB1_25:
	v_div_scale_f32 v8, s[0:1], v4, v4, v5
	v_cvt_f32_u32_e32 v1, v1
	v_cvt_f32_u32_e32 v9, s10
	;; [unrolled: 1-line block ×3, first 2 shown]
	v_div_scale_f32 v13, s[0:1], v4, v4, v3
	v_mul_f32_e32 v1, s12, v1
	v_min_f32_e32 v12, v1, v9
	v_div_scale_f32 v1, vcc, v5, v4, v5
	v_mul_f32_e32 v6, s12, v6
	v_max_f32_e32 v11, 0, v6
	v_cvt_f32_u32_e32 v6, s7
	v_cvt_f32_u32_e32 v9, s4
	;; [unrolled: 1-line block ×3, first 2 shown]
	v_div_scale_f32 v16, s[2:3], v4, v4, v2
	v_mul_f32_e32 v6, s13, v6
	v_max_f32_e32 v14, 0, v6
	v_mul_f32_e32 v6, s13, v9
	v_rcp_f32_e32 v9, v8
	v_min_f32_e32 v15, v6, v10
	v_div_scale_f32 v6, s[0:1], v3, v4, v3
	v_fma_f32 v10, -v8, v9, 1.0
	v_fmac_f32_e32 v9, v10, v9
	v_mul_f32_e32 v10, v1, v9
	v_fma_f32 v17, -v8, v10, v1
	v_fmac_f32_e32 v10, v17, v9
	v_div_scale_f32 v17, s[2:3], v2, v4, v2
	v_rcp_f32_e32 v18, v13
	v_fma_f32 v1, -v8, v10, v1
	v_div_fmas_f32 v8, v1, v9, v10
	s_mov_b64 vcc, s[0:1]
	v_fma_f32 v1, -v13, v18, 1.0
	v_fmac_f32_e32 v18, v1, v18
	v_mov_b32_e32 v21, 0
	v_mul_f32_e32 v1, v6, v18
	v_fma_f32 v9, -v13, v1, v6
	v_fmac_f32_e32 v1, v9, v18
	v_rcp_f32_e32 v9, v16
	v_fma_f32 v6, -v13, v1, v6
	v_div_fmas_f32 v10, v6, v18, v1
	s_mov_b64 vcc, s[2:3]
	v_fma_f32 v1, -v16, v9, 1.0
	v_fmac_f32_e32 v9, v1, v9
	v_mul_f32_e32 v1, v17, v9
	v_fma_f32 v6, -v16, v1, v17
	v_fmac_f32_e32 v1, v6, v9
	v_fma_f32 v6, -v16, v1, v17
	v_div_fmas_f32 v13, v6, v9, v1
	v_floor_f32_e32 v1, v11
	v_cvt_u32_f32_e32 v16, v1
	v_floor_f32_e32 v1, v14
	v_cvt_u32_f32_e32 v17, v1
	v_ceil_f32_e32 v1, v12
	v_cvt_u32_f32_e32 v6, v1
	v_ceil_f32_e32 v1, v15
	v_cvt_u32_f32_e32 v9, v1
	v_mov_b32_e32 v1, 0
	v_sub_u32_e32 v18, v6, v16
	v_div_fixup_f32 v8, v8, v4, v5
	v_sub_u32_e32 v9, v9, v17
	v_mul_lo_u32 v19, v9, v18
	v_div_fixup_f32 v9, v10, v4, v3
	v_mov_b32_e32 v22, 0
	v_div_fixup_f32 v10, v13, v4, v2
	v_and_b32_e32 v13, 31, v0
	v_cmp_lt_u32_e32 vcc, v13, v19
	v_mov_b32_e32 v23, 0
	s_and_saveexec_b64 s[4:5], vcc
	s_cbranch_execz .LBB1_32
; %bb.26:
	v_cvt_f32_u32_e32 v2, v18
	v_sub_u32_e32 v20, 0, v18
	v_and_b32_e32 v3, 31, v0
	v_cmp_neq_f32_e64 s[0:1], s14, 0
	v_rcp_iflag_f32_e32 v2, v2
	v_cmp_neq_f32_e64 s[2:3], s14, 1.0
	s_and_b64 s[12:13], s[0:1], s[2:3]
	v_mov_b32_e32 v1, 0
	v_mul_f32_e32 v2, 0x4f7ffffe, v2
	v_cvt_u32_f32_e32 v2, v2
	v_cmp_eq_f32_e64 s[6:7], s14, 0
	v_sub_u32_e32 v24, v16, v6
	s_mov_b64 s[8:9], 0
	v_mul_lo_u32 v0, v20, v2
	s_mov_b32 s11, 0xf800000
	v_mov_b32_e32 v25, 0x260
	s_mov_b32 s18, 0x43dcd623
	v_mul_hi_u32 v0, v2, v0
	s_mov_b32 s19, 0x3f2aaaab
	v_mov_b32_e32 v26, 0x3ecccdef
	s_mov_b32 s22, 0x3f317218
	v_add_u32_e32 v0, v2, v0
	v_mad_u64_u32 v[2:3], s[0:1], v0, v3, 0
	v_lshlrev_b64 v[4:5], 5, v[0:1]
	s_movk_i32 s23, 0x204
	s_mov_b32 s24, 0x7f800000
	s_mov_b32 s25, 0x42b17218
	;; [unrolled: 1-line block ×4, first 2 shown]
	s_brev_b32 s28, -2
	v_mov_b32_e32 v27, 0x37000000
	v_mov_b32_e32 v28, 0x7f800000
	;; [unrolled: 1-line block ×7, first 2 shown]
	s_branch .LBB1_29
.LBB1_27:                               ;   in Loop: Header=BB1_29 Depth=1
	v_mov_b32_e32 v35, s14
	v_cmp_neq_f32_e32 vcc, 1.0, v34
	v_frexp_mant_f32_e64 v36, |v34|
	v_cndmask_b32_e32 v35, 1.0, v35, vcc
	v_cmp_gt_f32_e32 vcc, s19, v36
	v_cndmask_b32_e64 v37, 1.0, 2.0, vcc
	v_mul_f32_e32 v36, v36, v37
	v_add_f32_e32 v37, 1.0, v36
	v_rcp_f32_e32 v38, v37
	v_add_f32_e32 v39, -1.0, v36
	v_add_f32_e32 v40, -1.0, v37
	v_sub_f32_e32 v36, v36, v40
	v_mul_f32_e32 v40, v39, v38
	v_mul_f32_e32 v41, v37, v40
	v_fma_f32 v37, v40, v37, -v41
	v_fmac_f32_e32 v37, v40, v36
	v_add_f32_e32 v36, v41, v37
	v_sub_f32_e32 v42, v39, v36
	v_sub_f32_e32 v41, v36, v41
	;; [unrolled: 1-line block ×5, first 2 shown]
	v_add_f32_e32 v36, v37, v36
	v_add_f32_e32 v36, v42, v36
	v_mul_f32_e32 v36, v38, v36
	v_add_f32_e32 v38, v40, v36
	v_sub_f32_e32 v37, v38, v40
	v_sub_f32_e32 v39, v36, v37
	v_mul_f32_e32 v36, v38, v38
	v_fma_f32 v37, v38, v38, -v36
	v_add_f32_e32 v40, v39, v39
	v_fmac_f32_e32 v37, v38, v40
	v_add_f32_e32 v40, v36, v37
	v_sub_f32_e32 v36, v40, v36
	v_sub_f32_e32 v36, v37, v36
	v_mul_f32_e32 v37, v38, v40
	v_fma_f32 v42, v40, v38, -v37
	v_fmac_f32_e32 v42, v40, v39
	v_mov_b32_e32 v41, 0x3e91f4c4
	v_fmac_f32_e32 v42, v36, v38
	v_fmac_f32_e32 v41, 0x3e76c4e1, v40
	v_add_f32_e32 v43, v37, v42
	v_fma_f32 v41, v40, v41, v26
	v_sub_f32_e32 v37, v43, v37
	v_sub_f32_e32 v42, v42, v37
	v_mul_f32_e32 v37, v40, v41
	v_fma_f32 v40, v40, v41, -v37
	v_fmac_f32_e32 v40, v36, v41
	v_add_f32_e32 v41, v37, v40
	v_sub_f32_e32 v45, v41, v37
	v_cvt_f64_f32_e64 v[36:37], |v34|
	v_add_f32_e32 v44, 0x3f2aaaaa, v41
	v_sub_f32_e32 v40, v40, v45
	v_add_f32_e32 v45, 0xbf2aaaaa, v44
	v_frexp_exp_i32_f64_e32 v36, v[36:37]
	v_add_f32_e32 v40, 0x31739010, v40
	v_sub_f32_e32 v37, v41, v45
	v_add_f32_e32 v37, v40, v37
	v_add_f32_e32 v40, v44, v37
	v_sub_f32_e32 v41, v44, v40
	v_add_f32_e32 v37, v37, v41
	v_mul_f32_e32 v41, v43, v40
	v_subbrev_co_u32_e32 v36, vcc, 0, v36, vcc
	v_cvt_f32_i32_e32 v36, v36
	v_fma_f32 v44, v43, v40, -v41
	v_fmac_f32_e32 v44, v43, v37
	v_fmac_f32_e32 v44, v42, v40
	v_mul_f32_e32 v37, 0x3f317218, v36
	v_fma_f32 v40, v36, s22, -v37
	v_fmac_f32_e32 v40, 0xb102e308, v36
	v_ldexp_f32 v36, v39, 1
	v_add_f32_e32 v39, v37, v40
	v_sub_f32_e32 v37, v39, v37
	v_ldexp_f32 v38, v38, 1
	v_sub_f32_e32 v37, v40, v37
	v_add_f32_e32 v40, v41, v44
	v_sub_f32_e32 v41, v40, v41
	v_add_f32_e32 v42, v38, v40
	v_sub_f32_e32 v41, v44, v41
	v_sub_f32_e32 v38, v42, v38
	;; [unrolled: 1-line block ×3, first 2 shown]
	v_add_f32_e32 v36, v36, v41
	v_add_f32_e32 v36, v36, v38
	;; [unrolled: 1-line block ×3, first 2 shown]
	v_sub_f32_e32 v40, v38, v42
	v_sub_f32_e32 v36, v36, v40
	v_add_f32_e32 v40, v39, v38
	v_sub_f32_e32 v41, v40, v39
	v_sub_f32_e32 v42, v40, v41
	;; [unrolled: 1-line block ×4, first 2 shown]
	v_add_f32_e32 v38, v38, v39
	v_add_f32_e32 v39, v37, v36
	v_sub_f32_e32 v41, v39, v37
	v_sub_f32_e32 v42, v39, v41
	;; [unrolled: 1-line block ×4, first 2 shown]
	v_add_f32_e32 v36, v36, v37
	v_add_f32_e32 v37, v39, v38
	;; [unrolled: 1-line block ×3, first 2 shown]
	v_sub_f32_e32 v39, v38, v40
	v_sub_f32_e32 v37, v37, v39
	v_add_f32_e32 v36, v36, v37
	v_add_f32_e32 v37, v38, v36
	v_sub_f32_e32 v38, v37, v38
	v_sub_f32_e32 v36, v36, v38
	v_mul_f32_e32 v38, v35, v37
	v_fma_f32 v37, v35, v37, -v38
	v_fmac_f32_e32 v37, v35, v36
	v_add_f32_e32 v36, v38, v37
	v_cmp_class_f32_e64 vcc, v38, s23
	v_sub_f32_e32 v39, v36, v38
	v_cndmask_b32_e32 v36, v36, v38, vcc
	v_cmp_eq_f32_e32 vcc, s25, v36
	v_cndmask_b32_e32 v38, 0, v27, vcc
	v_sub_f32_e32 v37, v37, v39
	v_sub_f32_e32 v39, v36, v38
	v_mul_f32_e32 v40, 0x3fb8aa3b, v39
	v_fma_f32 v41, v39, s26, -v40
	v_rndne_f32_e32 v42, v40
	v_fmac_f32_e32 v41, 0x32a5705f, v39
	v_sub_f32_e32 v40, v40, v42
	v_add_f32_e32 v40, v40, v41
	v_exp_f32_e32 v40, v40
	v_cvt_i32_f32_e32 v41, v42
	v_cmp_neq_f32_e64 vcc, |v36|, s24
	v_cndmask_b32_e32 v36, 0, v37, vcc
	v_cmp_ngt_f32_e32 vcc, s27, v39
	v_ldexp_f32 v37, v40, v41
	v_cndmask_b32_e32 v37, 0, v37, vcc
	v_cmp_nlt_f32_e32 vcc, s25, v39
	v_add_f32_e32 v36, v38, v36
	v_cndmask_b32_e32 v37, v28, v37, vcc
	v_fma_f32 v36, v37, v36, v37
	v_cmp_class_f32_e64 vcc, v37, s23
	v_cndmask_b32_e32 v36, v36, v37, vcc
	v_trunc_f32_e32 v37, v35
	v_cmp_eq_f32_e32 vcc, v37, v35
	v_mul_f32_e32 v37, 0.5, v35
	v_trunc_f32_e32 v38, v37
	v_cmp_neq_f32_e64 s[0:1], v38, v37
	s_and_b64 vcc, vcc, s[0:1]
	v_cmp_neq_f32_e64 s[0:1], v35, |v35|
	v_cmp_lt_f32_e64 s[2:3], |v34|, 1.0
	v_cndmask_b32_e32 v37, 1.0, v34, vcc
	s_xor_b64 s[0:1], s[2:3], s[0:1]
	v_bfi_b32 v36, s28, v36, v37
	v_cndmask_b32_e64 v37, v28, 0, s[0:1]
	v_cmp_neq_f32_e64 s[0:1], |v34|, 1.0
	v_cndmask_b32_e64 v37, 1.0, v37, s[0:1]
	v_cmp_class_f32_e64 s[0:1], v35, s23
	v_cndmask_b32_e64 v36, v36, v37, s[0:1]
	v_cmp_eq_f32_e64 s[0:1], 0, v34
	v_cmp_gt_f32_e64 s[2:3], 0, v35
	s_xor_b64 s[2:3], s[0:1], s[2:3]
	v_cmp_class_f32_e64 s[30:31], v34, s23
	v_cndmask_b32_e64 v37, v28, 0, s[2:3]
	v_cndmask_b32_e32 v38, 0, v34, vcc
	v_bfi_b32 v37, s28, v37, v38
	s_or_b64 vcc, s[0:1], s[30:31]
	v_cndmask_b32_e32 v36, v36, v37, vcc
	v_cmp_o_f32_e32 vcc, v34, v35
	v_cndmask_b32_e32 v34, v29, v36, vcc
.LBB1_28:                               ;   in Loop: Header=BB1_29 Depth=1
	v_cvt_f32_u32_e32 v6, v6
	v_cvt_f32_u32_e32 v33, v33
	v_add_u32_e32 v0, 32, v0
	v_sub_f32_e32 v35, v6, v11
	v_add_f32_e32 v36, 1.0, v6
	v_add_f32_e32 v35, 1.0, v35
	v_sub_f32_e32 v37, v12, v36
	v_mul_f32_e32 v35, v35, v34
	v_cmp_gt_f32_e32 vcc, v11, v6
	v_cndmask_b32_e32 v6, v34, v35, vcc
	v_add_f32_e32 v34, 1.0, v37
	v_mul_f32_e32 v34, v34, v6
	v_cmp_gt_f32_e32 vcc, v36, v12
	v_cndmask_b32_e32 v6, v6, v34, vcc
	v_sub_f32_e32 v34, v33, v14
	v_add_f32_e32 v34, 1.0, v34
	v_mul_f32_e32 v34, v34, v6
	v_cmp_gt_f32_e32 vcc, v14, v33
	v_add_f32_e32 v33, 1.0, v33
	v_cndmask_b32_e32 v6, v6, v34, vcc
	v_sub_f32_e32 v34, v15, v33
	v_add_f32_e32 v34, 1.0, v34
	v_mul_f32_e32 v34, v34, v6
	v_cmp_gt_f32_e32 vcc, v33, v15
	v_cndmask_b32_e32 v6, v6, v34, vcc
	v_cmp_ge_u32_e32 vcc, v0, v19
	s_or_b64 s[8:9], vcc, s[8:9]
	v_add_co_u32_e32 v2, vcc, v2, v4
	v_fmac_f32_e32 v1, v6, v30
	v_fmac_f32_e32 v21, v6, v31
	;; [unrolled: 1-line block ×3, first 2 shown]
	v_add_f32_e32 v23, v23, v6
	v_addc_co_u32_e32 v3, vcc, v3, v5, vcc
	s_andn2_b64 exec, exec, s[8:9]
	s_cbranch_execz .LBB1_31
.LBB1_29:                               ; =>This Inner Loop Header: Depth=1
	v_mad_u64_u32 v[30:31], s[0:1], v20, v3, v[0:1]
	v_add_u32_e32 v6, 1, v3
	v_cmp_ge_u32_e32 vcc, v30, v18
	v_add_u32_e32 v31, v30, v24
	v_cndmask_b32_e32 v6, v3, v6, vcc
	v_cndmask_b32_e32 v30, v30, v31, vcc
	v_add_u32_e32 v31, 1, v6
	v_cmp_ge_u32_e32 vcc, v30, v18
	v_cndmask_b32_e32 v30, v6, v31, vcc
	v_mul_lo_u32 v6, v20, v30
	v_add_u32_e32 v33, v30, v17
	v_add3_u32 v6, v16, v0, v6
	v_mad_u64_u32 v[30:31], s[0:1], v33, s10, v[6:7]
	v_mad_u64_u32 v[30:31], s[0:1], v30, 3, s[16:17]
	global_load_ushort v32, v[30:31], off
	global_load_ubyte v34, v[30:31], off offset:2
	s_waitcnt vmcnt(1)
	v_cvt_f32_ubyte1_e32 v31, v32
	v_cvt_f32_ubyte0_e32 v30, v32
	v_sub_f32_e32 v35, v9, v31
	s_waitcnt vmcnt(0)
	v_cvt_f32_ubyte0_e32 v32, v34
	v_sub_f32_e32 v34, v8, v30
	v_mul_f32_e32 v35, v35, v35
	v_sub_f32_e32 v36, v10, v32
	v_fmac_f32_e32 v35, v34, v34
	v_fmac_f32_e32 v35, v36, v36
	v_mul_f32_e32 v34, 0x4f800000, v35
	v_cmp_gt_f32_e32 vcc, s11, v35
	v_cndmask_b32_e32 v34, v35, v34, vcc
	v_sqrt_f32_e32 v35, v34
	v_add_u32_e32 v36, -1, v35
	v_add_u32_e32 v37, 1, v35
	v_fma_f32 v38, -v36, v35, v34
	v_fma_f32 v39, -v37, v35, v34
	v_cmp_ge_f32_e64 s[0:1], 0, v38
	v_cndmask_b32_e64 v35, v35, v36, s[0:1]
	v_cmp_lt_f32_e64 s[0:1], 0, v39
	v_cndmask_b32_e64 v35, v35, v37, s[0:1]
	v_mul_f32_e32 v36, 0x37800000, v35
	v_cndmask_b32_e32 v35, v35, v36, vcc
	v_cmp_class_f32_e32 vcc, v34, v25
	v_cndmask_b32_e32 v34, v35, v34, vcc
	v_div_scale_f32 v35, s[0:1], s18, s18, v34
	v_div_scale_f32 v36, vcc, v34, s18, v34
	v_rcp_f32_e32 v37, v35
	v_fma_f32 v38, -v35, v37, 1.0
	v_fmac_f32_e32 v37, v38, v37
	v_mul_f32_e32 v38, v36, v37
	v_fma_f32 v39, -v35, v38, v36
	v_fmac_f32_e32 v38, v39, v37
	v_fma_f32 v35, -v35, v38, v36
	v_div_fmas_f32 v35, v35, v37, v38
	s_andn2_b64 vcc, exec, s[12:13]
	v_div_fixup_f32 v34, v35, s18, v34
	s_cbranch_vccz .LBB1_27
; %bb.30:                               ;   in Loop: Header=BB1_29 Depth=1
	v_cndmask_b32_e64 v34, v34, 1.0, s[6:7]
	s_branch .LBB1_28
.LBB1_31:
	s_or_b64 exec, exec, s[8:9]
.LBB1_32:
	s_or_b64 exec, exec, s[4:5]
	v_mbcnt_lo_u32_b32 v0, -1, 0
	v_mbcnt_hi_u32_b32 v2, -1, v0
	v_lshl_or_b32 v0, v2, 2, 64
	ds_bpermute_b32 v3, v0, v1
	ds_bpermute_b32 v4, v0, v21
	;; [unrolled: 1-line block ×4, first 2 shown]
	v_and_b32_e32 v6, 31, v2
	v_cmp_lt_u32_e32 vcc, 23, v6
	s_waitcnt lgkmcnt(3)
	v_add_f32_e32 v1, v1, v3
	s_waitcnt lgkmcnt(2)
	v_add_f32_e32 v3, v21, v4
	;; [unrolled: 2-line block ×3, first 2 shown]
	v_cndmask_b32_e64 v5, 8, 0, vcc
	s_waitcnt lgkmcnt(0)
	v_add_f32_e32 v0, v23, v0
	v_add_lshl_u32 v5, v5, v2, 2
	ds_bpermute_b32 v11, v5, v1
	ds_bpermute_b32 v12, v5, v3
	;; [unrolled: 1-line block ×4, first 2 shown]
	v_cmp_lt_u32_e32 vcc, 27, v6
	s_waitcnt lgkmcnt(3)
	v_add_f32_e32 v1, v1, v11
	s_waitcnt lgkmcnt(2)
	v_add_f32_e32 v3, v3, v12
	;; [unrolled: 2-line block ×4, first 2 shown]
	v_cndmask_b32_e64 v5, 4, 0, vcc
	v_add_lshl_u32 v5, v5, v2, 2
	ds_bpermute_b32 v11, v5, v1
	ds_bpermute_b32 v14, v5, v4
	;; [unrolled: 1-line block ×4, first 2 shown]
	v_cmp_lt_u32_e32 vcc, 29, v6
	s_waitcnt lgkmcnt(3)
	v_add_f32_e32 v1, v1, v11
	s_waitcnt lgkmcnt(2)
	v_add_f32_e32 v11, v4, v14
	v_cndmask_b32_e64 v4, 2, 0, vcc
	s_waitcnt lgkmcnt(1)
	v_add_f32_e32 v3, v3, v12
	s_waitcnt lgkmcnt(0)
	v_add_f32_e32 v0, v0, v5
	v_add_lshl_u32 v4, v4, v2, 2
	ds_bpermute_b32 v5, v4, v1
	ds_bpermute_b32 v12, v4, v3
	;; [unrolled: 1-line block ×4, first 2 shown]
	v_cmp_ne_u32_e32 vcc, 31, v6
	v_addc_co_u32_e32 v2, vcc, 0, v2, vcc
	s_waitcnt lgkmcnt(3)
	v_add_f32_e32 v4, v1, v5
	s_waitcnt lgkmcnt(2)
	v_add_f32_e32 v5, v3, v12
	;; [unrolled: 2-line block ×4, first 2 shown]
	v_lshlrev_b32_e32 v3, 2, v2
	ds_bpermute_b32 v6, v3, v4
	ds_bpermute_b32 v11, v3, v5
	;; [unrolled: 1-line block ×4, first 2 shown]
	v_cmp_eq_u32_e32 vcc, 0, v13
	s_and_b64 exec, exec, vcc
	s_cbranch_execz .LBB1_38
; %bb.33:
	s_waitcnt lgkmcnt(0)
	v_add_f32_e32 v0, v0, v3
	v_cmp_neq_f32_e32 vcc, 0, v0
                                        ; implicit-def: $vgpr3
	s_and_saveexec_b64 s[0:1], vcc
	s_xor_b64 s[4:5], exec, s[0:1]
	s_cbranch_execz .LBB1_35
; %bb.34:
	v_add_f32_e32 v3, v4, v6
	v_add_f32_e32 v4, v5, v11
	v_div_scale_f32 v5, s[0:1], v0, v0, v3
	v_div_scale_f32 v6, s[0:1], v0, v0, v4
	v_div_scale_f32 v8, vcc, v3, v0, v3
	v_div_scale_f32 v9, s[0:1], v4, v0, v4
	v_add_f32_e32 v1, v1, v2
	v_div_scale_f32 v2, s[2:3], v0, v0, v1
	v_div_scale_f32 v12, s[2:3], v1, v0, v1
	v_rcp_f32_e32 v10, v5
	v_rcp_f32_e32 v11, v6
	v_fma_f32 v13, -v5, v10, 1.0
	v_fmac_f32_e32 v10, v13, v10
	v_fma_f32 v14, -v6, v11, 1.0
	v_mul_f32_e32 v13, v8, v10
	v_fmac_f32_e32 v11, v14, v11
	v_fma_f32 v15, -v5, v13, v8
	v_mul_f32_e32 v14, v9, v11
	v_fmac_f32_e32 v13, v15, v10
	v_fma_f32 v5, -v5, v13, v8
	v_fma_f32 v8, -v6, v14, v9
	v_fmac_f32_e32 v14, v8, v11
	v_rcp_f32_e32 v8, v2
	v_fma_f32 v6, -v6, v14, v9
	v_div_fmas_f32 v5, v5, v10, v13
	s_mov_b64 vcc, s[0:1]
	v_fma_f32 v9, -v2, v8, 1.0
	v_fmac_f32_e32 v8, v9, v8
	v_mul_f32_e32 v9, v12, v8
	v_fma_f32 v10, -v2, v9, v12
	v_fmac_f32_e32 v9, v10, v8
	v_div_fmas_f32 v6, v6, v11, v14
	v_fma_f32 v2, -v2, v9, v12
	s_mov_b64 vcc, s[2:3]
	v_div_fmas_f32 v2, v2, v8, v9
                                        ; implicit-def: $vgpr9
                                        ; implicit-def: $vgpr10
	v_div_fixup_f32 v8, v5, v0, v3
	v_div_fixup_f32 v4, v6, v0, v4
	;; [unrolled: 1-line block ×3, first 2 shown]
	v_cvt_i32_f32_e32 v2, v4
	v_cvt_i32_f32_sdwa v1, v1 dst_sel:WORD_1 dst_unused:UNUSED_PAD src0_sel:DWORD
	v_lshl_or_b32 v3, v2, 8, v1
.LBB1_35:
	s_andn2_saveexec_b64 s[0:1], s[4:5]
; %bb.36:
	v_cvt_i32_f32_e32 v0, v9
	v_cvt_i32_f32_sdwa v1, v10 dst_sel:WORD_1 dst_unused:UNUSED_PAD src0_sel:DWORD
	v_lshl_or_b32 v3, v0, 8, v1
; %bb.37:
	s_or_b64 exec, exec, s[0:1]
	v_add_u32_e32 v0, s15, v7
	v_cvt_i32_f32_e32 v2, v8
	v_mad_u64_u32 v[0:1], s[0:1], v0, 3, s[20:21]
	v_or_b32_e32 v2, v3, v2
	global_store_byte_d16_hi v[0:1], v3, off offset:2
	global_store_short v[0:1], v2, off
.LBB1_38:
	s_endpgm
	.section	.rodata,"a",@progbits
	.p2align	6, 0x0
	.amdhsa_kernel _Z18kernelDownsamplingPK15HIP_vector_typeIhLj3EES2_6ParamsPS0_
		.amdhsa_group_segment_fixed_size 0
		.amdhsa_private_segment_fixed_size 0
		.amdhsa_kernarg_size 56
		.amdhsa_user_sgpr_count 6
		.amdhsa_user_sgpr_private_segment_buffer 1
		.amdhsa_user_sgpr_dispatch_ptr 0
		.amdhsa_user_sgpr_queue_ptr 0
		.amdhsa_user_sgpr_kernarg_segment_ptr 1
		.amdhsa_user_sgpr_dispatch_id 0
		.amdhsa_user_sgpr_flat_scratch_init 0
		.amdhsa_user_sgpr_private_segment_size 0
		.amdhsa_uses_dynamic_stack 0
		.amdhsa_system_sgpr_private_segment_wavefront_offset 0
		.amdhsa_system_sgpr_workgroup_id_x 1
		.amdhsa_system_sgpr_workgroup_id_y 1
		.amdhsa_system_sgpr_workgroup_id_z 0
		.amdhsa_system_sgpr_workgroup_info 0
		.amdhsa_system_vgpr_workitem_id 0
		.amdhsa_next_free_vgpr 46
		.amdhsa_next_free_sgpr 32
		.amdhsa_reserve_vcc 1
		.amdhsa_reserve_flat_scratch 0
		.amdhsa_float_round_mode_32 0
		.amdhsa_float_round_mode_16_64 0
		.amdhsa_float_denorm_mode_32 3
		.amdhsa_float_denorm_mode_16_64 3
		.amdhsa_dx10_clamp 1
		.amdhsa_ieee_mode 1
		.amdhsa_fp16_overflow 0
		.amdhsa_exception_fp_ieee_invalid_op 0
		.amdhsa_exception_fp_denorm_src 0
		.amdhsa_exception_fp_ieee_div_zero 0
		.amdhsa_exception_fp_ieee_overflow 0
		.amdhsa_exception_fp_ieee_underflow 0
		.amdhsa_exception_fp_ieee_inexact 0
		.amdhsa_exception_int_div_zero 0
	.end_amdhsa_kernel
	.text
.Lfunc_end1:
	.size	_Z18kernelDownsamplingPK15HIP_vector_typeIhLj3EES2_6ParamsPS0_, .Lfunc_end1-_Z18kernelDownsamplingPK15HIP_vector_typeIhLj3EES2_6ParamsPS0_
                                        ; -- End function
	.set _Z18kernelDownsamplingPK15HIP_vector_typeIhLj3EES2_6ParamsPS0_.num_vgpr, 46
	.set _Z18kernelDownsamplingPK15HIP_vector_typeIhLj3EES2_6ParamsPS0_.num_agpr, 0
	.set _Z18kernelDownsamplingPK15HIP_vector_typeIhLj3EES2_6ParamsPS0_.numbered_sgpr, 32
	.set _Z18kernelDownsamplingPK15HIP_vector_typeIhLj3EES2_6ParamsPS0_.num_named_barrier, 0
	.set _Z18kernelDownsamplingPK15HIP_vector_typeIhLj3EES2_6ParamsPS0_.private_seg_size, 0
	.set _Z18kernelDownsamplingPK15HIP_vector_typeIhLj3EES2_6ParamsPS0_.uses_vcc, 1
	.set _Z18kernelDownsamplingPK15HIP_vector_typeIhLj3EES2_6ParamsPS0_.uses_flat_scratch, 0
	.set _Z18kernelDownsamplingPK15HIP_vector_typeIhLj3EES2_6ParamsPS0_.has_dyn_sized_stack, 0
	.set _Z18kernelDownsamplingPK15HIP_vector_typeIhLj3EES2_6ParamsPS0_.has_recursion, 0
	.set _Z18kernelDownsamplingPK15HIP_vector_typeIhLj3EES2_6ParamsPS0_.has_indirect_call, 0
	.section	.AMDGPU.csdata,"",@progbits
; Kernel info:
; codeLenInByte = 3540
; TotalNumSgprs: 36
; NumVgprs: 46
; ScratchSize: 0
; MemoryBound: 0
; FloatMode: 240
; IeeeMode: 1
; LDSByteSize: 0 bytes/workgroup (compile time only)
; SGPRBlocks: 4
; VGPRBlocks: 11
; NumSGPRsForWavesPerEU: 36
; NumVGPRsForWavesPerEU: 46
; Occupancy: 5
; WaveLimiterHint : 0
; COMPUTE_PGM_RSRC2:SCRATCH_EN: 0
; COMPUTE_PGM_RSRC2:USER_SGPR: 6
; COMPUTE_PGM_RSRC2:TRAP_HANDLER: 0
; COMPUTE_PGM_RSRC2:TGID_X_EN: 1
; COMPUTE_PGM_RSRC2:TGID_Y_EN: 1
; COMPUTE_PGM_RSRC2:TGID_Z_EN: 0
; COMPUTE_PGM_RSRC2:TIDIG_COMP_CNT: 0
	.section	.AMDGPU.gpr_maximums,"",@progbits
	.set amdgpu.max_num_vgpr, 0
	.set amdgpu.max_num_agpr, 0
	.set amdgpu.max_num_sgpr, 0
	.section	.AMDGPU.csdata,"",@progbits
	.type	__hip_cuid_aea7b09e3c07acde,@object ; @__hip_cuid_aea7b09e3c07acde
	.section	.bss,"aw",@nobits
	.globl	__hip_cuid_aea7b09e3c07acde
__hip_cuid_aea7b09e3c07acde:
	.byte	0                               ; 0x0
	.size	__hip_cuid_aea7b09e3c07acde, 1

	.ident	"AMD clang version 22.0.0git (https://github.com/RadeonOpenCompute/llvm-project roc-7.2.4 26084 f58b06dce1f9c15707c5f808fd002e18c2accf7e)"
	.section	".note.GNU-stack","",@progbits
	.addrsig
	.addrsig_sym __hip_cuid_aea7b09e3c07acde
	.amdgpu_metadata
---
amdhsa.kernels:
  - .args:
      - .actual_access:  read_only
        .address_space:  global
        .offset:         0
        .size:           8
        .value_kind:     global_buffer
      - .actual_access:  write_only
        .address_space:  global
        .offset:         8
        .size:           8
        .value_kind:     global_buffer
      - .offset:         16
        .size:           32
        .value_kind:     by_value
    .group_segment_fixed_size: 0
    .kernarg_segment_align: 8
    .kernarg_segment_size: 48
    .language:       OpenCL C
    .language_version:
      - 2
      - 0
    .max_flat_workgroup_size: 1024
    .name:           _Z14kernelGuidancePK15HIP_vector_typeIhLj3EEPS0_6Params
    .private_segment_fixed_size: 0
    .sgpr_count:     19
    .sgpr_spill_count: 0
    .symbol:         _Z14kernelGuidancePK15HIP_vector_typeIhLj3EEPS0_6Params.kd
    .uniform_work_group_size: 1
    .uses_dynamic_stack: false
    .vgpr_count:     27
    .vgpr_spill_count: 0
    .wavefront_size: 64
  - .args:
      - .actual_access:  read_only
        .address_space:  global
        .offset:         0
        .size:           8
        .value_kind:     global_buffer
      - .actual_access:  read_only
        .address_space:  global
        .offset:         8
        .size:           8
        .value_kind:     global_buffer
      - .offset:         16
        .size:           32
        .value_kind:     by_value
      - .actual_access:  write_only
        .address_space:  global
        .offset:         48
        .size:           8
        .value_kind:     global_buffer
    .group_segment_fixed_size: 0
    .kernarg_segment_align: 8
    .kernarg_segment_size: 56
    .language:       OpenCL C
    .language_version:
      - 2
      - 0
    .max_flat_workgroup_size: 1024
    .name:           _Z18kernelDownsamplingPK15HIP_vector_typeIhLj3EES2_6ParamsPS0_
    .private_segment_fixed_size: 0
    .sgpr_count:     36
    .sgpr_spill_count: 0
    .symbol:         _Z18kernelDownsamplingPK15HIP_vector_typeIhLj3EES2_6ParamsPS0_.kd
    .uniform_work_group_size: 1
    .uses_dynamic_stack: false
    .vgpr_count:     46
    .vgpr_spill_count: 0
    .wavefront_size: 64
amdhsa.target:   amdgcn-amd-amdhsa--gfx906
amdhsa.version:
  - 1
  - 2
...

	.end_amdgpu_metadata
